;; amdgpu-corpus repo=ROCm/rocFFT kind=compiled arch=gfx1030 opt=O3
	.text
	.amdgcn_target "amdgcn-amd-amdhsa--gfx1030"
	.amdhsa_code_object_version 6
	.protected	bluestein_single_back_len1536_dim1_dp_op_CI_CI ; -- Begin function bluestein_single_back_len1536_dim1_dp_op_CI_CI
	.globl	bluestein_single_back_len1536_dim1_dp_op_CI_CI
	.p2align	8
	.type	bluestein_single_back_len1536_dim1_dp_op_CI_CI,@function
bluestein_single_back_len1536_dim1_dp_op_CI_CI: ; @bluestein_single_back_len1536_dim1_dp_op_CI_CI
; %bb.0:
	s_load_dwordx4 s[0:3], s[4:5], 0x28
	s_mov_b32 s7, 0
	s_waitcnt lgkmcnt(0)
	v_cmp_lt_u64_e64 s0, s[6:7], s[0:1]
	s_and_saveexec_b32 s1, s0
	s_cbranch_execz .LBB0_23
; %bb.1:
	s_clause 0x1
	s_load_dwordx2 s[14:15], s[4:5], 0x0
	s_load_dwordx2 s[12:13], s[4:5], 0x38
	v_mov_b32_e32 v154, s7
	v_mov_b32_e32 v153, s6
	v_cmp_gt_u32_e32 vcc_lo, 0x60, v0
	v_lshlrev_b32_e32 v154, 4, v0
	v_or_b32_e32 v156, 0x180, v0
	v_or_b32_e32 v155, 0x480, v0
	s_and_saveexec_b32 s6, vcc_lo
	s_cbranch_execz .LBB0_3
; %bb.2:
	s_load_dwordx2 s[0:1], s[4:5], 0x18
	s_waitcnt lgkmcnt(0)
	v_add_co_u32 v111, s7, s14, v154
	v_add_co_ci_u32_e64 v112, null, s15, 0, s7
	v_lshlrev_b32_e32 v32, 4, v156
	v_lshlrev_b32_e32 v59, 4, v155
	v_or_b32_e32 v79, 0x3000, v154
	s_load_dwordx4 s[8:11], s[0:1], 0x0
	v_add_co_u32 v9, s0, 0x800, v111
	v_add_co_ci_u32_e64 v10, s0, 0, v112, s0
	v_add_co_u32 v13, s0, 0x1000, v111
	v_add_co_ci_u32_e64 v14, s0, 0, v112, s0
	;; [unrolled: 2-line block ×5, first 2 shown]
	s_waitcnt lgkmcnt(0)
	v_mad_u64_u32 v[17:18], null, s10, v153, 0
	v_mad_u64_u32 v[19:20], null, s8, v0, 0
	;; [unrolled: 1-line block ×3, first 2 shown]
	s_mul_i32 s0, s9, 0x600
	s_mul_hi_u32 s7, s8, 0x600
	s_mul_i32 s1, s8, 0x600
	s_add_i32 s7, s7, s0
	v_mad_u64_u32 v[27:28], null, s11, v153, v[18:19]
	v_mad_u64_u32 v[30:31], null, s9, v0, v[20:21]
	;; [unrolled: 1-line block ×3, first 2 shown]
	s_clause 0x3
	global_load_dwordx4 v[1:4], v154, s[14:15]
	global_load_dwordx4 v[5:8], v154, s[14:15] offset:1536
	global_load_dwordx4 v[9:12], v[9:10], off offset:1024
	global_load_dwordx4 v[13:16], v[13:14], off offset:512
	v_mov_b32_e32 v18, v27
	v_mov_b32_e32 v20, v30
	v_mov_b32_e32 v27, v29
	v_lshlrev_b64 v[17:18], 4, v[17:18]
	v_mad_u64_u32 v[29:30], null, s9, v156, v[24:25]
	v_lshlrev_b64 v[19:20], 4, v[19:20]
	v_mad_u64_u32 v[30:31], null, s9, v155, v[27:28]
	v_add_co_u32 v27, s0, s2, v17
	v_add_co_ci_u32_e64 v31, s0, s3, v18, s0
	v_mov_b32_e32 v24, v29
	v_add_co_u32 v37, s0, v27, v19
	v_add_co_ci_u32_e64 v38, s0, v31, v20, s0
	v_mov_b32_e32 v29, v30
	v_add_co_u32 v41, s0, v37, s1
	v_add_co_ci_u32_e64 v42, s0, s7, v38, s0
	v_lshlrev_b64 v[17:18], 4, v[23:24]
	v_add_co_u32 v45, s0, v41, s1
	v_add_co_ci_u32_e64 v46, s0, s7, v42, s0
	v_lshlrev_b64 v[19:20], 4, v[28:29]
	v_add_co_u32 v49, s0, v45, s1
	v_add_co_ci_u32_e64 v50, s0, s7, v46, s0
	v_add_co_u32 v29, s0, v27, v17
	s_mul_i32 s2, s9, 0xc00
	v_mad_u64_u32 v[57:58], null, 0xc00, s8, v[49:50]
	v_add_co_ci_u32_e64 v30, s0, v31, v18, s0
	v_add_co_u32 v33, s0, v27, v19
	v_add_co_ci_u32_e64 v34, s0, v31, v20, s0
	v_add_nc_u32_e32 v58, s2, v58
	v_add_co_u32 v65, s0, v57, s1
	s_clause 0x2
	global_load_dwordx4 v[17:20], v32, s[14:15]
	global_load_dwordx4 v[21:24], v[21:22], off offset:1536
	global_load_dwordx4 v[25:28], v[25:26], off offset:1024
	s_clause 0x1
	global_load_dwordx4 v[29:32], v[29:30], off
	global_load_dwordx4 v[33:36], v[33:34], off
	v_add_co_ci_u32_e64 v66, s0, s7, v58, s0
	v_add_co_u32 v69, s0, 0x2800, v111
	v_add_co_ci_u32_e64 v70, s0, 0, v112, s0
	v_add_co_u32 v77, s0, v65, s1
	v_add_co_ci_u32_e64 v78, s0, s7, v66, s0
	s_clause 0x4
	global_load_dwordx4 v[37:40], v[37:38], off
	global_load_dwordx4 v[41:44], v[41:42], off
	;; [unrolled: 1-line block ×5, first 2 shown]
	v_add_co_u32 v85, s0, v77, s1
	v_add_co_ci_u32_e64 v86, s0, s7, v78, s0
	v_add_co_u32 v81, s0, 0x3000, v111
	v_add_co_ci_u32_e64 v82, s0, 0, v112, s0
	v_add_co_u32 v89, s0, v85, s1
	v_add_co_ci_u32_e64 v90, s0, s7, v86, s0
	s_clause 0x1
	global_load_dwordx4 v[57:60], v59, s[14:15]
	global_load_dwordx4 v[61:64], v[61:62], off offset:1536
	global_load_dwordx4 v[65:68], v[65:66], off
	global_load_dwordx4 v[69:72], v[69:70], off offset:512
	global_load_dwordx4 v[73:76], v[77:78], off
	v_add_co_u32 v97, s0, v89, s1
	v_add_co_ci_u32_e64 v98, s0, s7, v90, s0
	s_clause 0x1
	global_load_dwordx4 v[77:80], v79, s[14:15]
	global_load_dwordx4 v[81:84], v[81:82], off offset:1536
	v_add_co_u32 v105, s0, v97, s1
	v_add_co_ci_u32_e64 v106, s0, s7, v98, s0
	v_add_co_u32 v93, s0, 0x3800, v111
	v_add_co_ci_u32_e64 v94, s0, 0, v112, s0
	v_mad_u64_u32 v[109:110], null, 0xc00, s8, v[105:106]
	v_add_co_u32 v101, s0, 0x4000, v111
	v_add_co_ci_u32_e64 v102, s0, 0, v112, s0
	v_add_co_u32 v113, s0, 0x5000, v111
	v_add_nc_u32_e32 v110, s2, v110
	v_add_co_ci_u32_e64 v114, s0, 0, v112, s0
	v_add_co_u32 v117, s0, v109, s1
	v_add_co_ci_u32_e64 v118, s0, s7, v110, s0
	v_add_co_u32 v121, s0, 0x5800, v111
	global_load_dwordx4 v[85:88], v[85:86], off
	global_load_dwordx4 v[89:92], v[89:90], off
	global_load_dwordx4 v[93:96], v[93:94], off offset:1024
	global_load_dwordx4 v[97:100], v[97:98], off
	global_load_dwordx4 v[101:104], v[101:102], off offset:512
	global_load_dwordx4 v[105:108], v[105:106], off
	v_add_co_ci_u32_e64 v122, s0, 0, v112, s0
	v_add_co_u32 v125, s0, v117, s1
	v_add_co_ci_u32_e64 v126, s0, s7, v118, s0
	global_load_dwordx4 v[109:112], v[109:110], off
	global_load_dwordx4 v[113:116], v[113:114], off offset:1024
	global_load_dwordx4 v[117:120], v[117:118], off
	global_load_dwordx4 v[121:124], v[121:122], off offset:512
	global_load_dwordx4 v[125:128], v[125:126], off
	s_waitcnt vmcnt(24)
	v_mul_f64 v[131:132], v[31:32], v[19:20]
	v_mul_f64 v[19:20], v[29:30], v[19:20]
	s_waitcnt vmcnt(22)
	v_mul_f64 v[129:130], v[39:40], v[3:4]
	v_mul_f64 v[3:4], v[37:38], v[3:4]
	;; [unrolled: 3-line block ×6, first 2 shown]
	v_fma_f64 v[37:38], v[37:38], v[1:2], v[129:130]
	v_fma_f64 v[39:40], v[39:40], v[1:2], -v[3:4]
	v_fma_f64 v[3:4], v[31:32], v[17:18], -v[19:20]
	v_mul_f64 v[19:20], v[55:56], v[23:24]
	v_mul_f64 v[23:24], v[53:54], v[23:24]
	v_fma_f64 v[1:2], v[29:30], v[17:18], v[131:132]
	v_fma_f64 v[29:30], v[41:42], v[5:6], v[135:136]
	s_waitcnt vmcnt(13)
	v_mul_f64 v[41:42], v[73:74], v[71:72]
	v_fma_f64 v[31:32], v[43:44], v[5:6], -v[7:8]
	v_fma_f64 v[5:6], v[45:46], v[9:10], v[137:138]
	v_fma_f64 v[7:8], v[47:48], v[9:10], -v[11:12]
	v_fma_f64 v[9:10], v[49:50], v[13:14], v[139:140]
	;; [unrolled: 2-line block ×3, first 2 shown]
	v_mul_f64 v[33:34], v[67:68], v[27:28]
	v_mul_f64 v[27:28], v[65:66], v[27:28]
	v_fma_f64 v[17:18], v[35:36], v[57:58], -v[59:60]
	v_mul_f64 v[35:36], v[75:76], v[71:72]
	s_waitcnt vmcnt(10)
	v_mul_f64 v[43:44], v[87:88], v[79:80]
	v_mul_f64 v[45:46], v[85:86], v[79:80]
	s_waitcnt vmcnt(9)
	v_mul_f64 v[47:48], v[91:92], v[83:84]
	;; [unrolled: 3-line block ×7, first 2 shown]
	v_mul_f64 v[123:124], v[125:126], v[123:124]
	v_fma_f64 v[19:20], v[53:54], v[21:22], v[19:20]
	v_fma_f64 v[21:22], v[55:56], v[21:22], -v[23:24]
	v_fma_f64 v[23:24], v[65:66], v[25:26], v[33:34]
	v_fma_f64 v[25:26], v[67:68], v[25:26], -v[27:28]
	;; [unrolled: 2-line block ×10, first 2 shown]
	ds_write_b128 v154, v[37:40]
	ds_write_b128 v154, v[29:32] offset:1536
	ds_write_b128 v154, v[5:8] offset:3072
	;; [unrolled: 1-line block ×15, first 2 shown]
.LBB0_3:
	s_or_b32 exec_lo, exec_lo, s6
	s_waitcnt lgkmcnt(0)
	s_barrier
	buffer_gl0_inv
                                        ; implicit-def: $vgpr1_vgpr2
                                        ; implicit-def: $vgpr13_vgpr14
                                        ; implicit-def: $vgpr33_vgpr34
                                        ; implicit-def: $vgpr57_vgpr58
                                        ; implicit-def: $vgpr61_vgpr62
                                        ; implicit-def: $vgpr49_vgpr50
                                        ; implicit-def: $vgpr53_vgpr54
                                        ; implicit-def: $vgpr41_vgpr42
                                        ; implicit-def: $vgpr45_vgpr46
                                        ; implicit-def: $vgpr37_vgpr38
                                        ; implicit-def: $vgpr25_vgpr26
                                        ; implicit-def: $vgpr17_vgpr18
                                        ; implicit-def: $vgpr29_vgpr30
                                        ; implicit-def: $vgpr9_vgpr10
                                        ; implicit-def: $vgpr21_vgpr22
                                        ; implicit-def: $vgpr5_vgpr6
	s_and_saveexec_b32 s0, vcc_lo
	s_cbranch_execz .LBB0_5
; %bb.4:
	ds_read_b128 v[1:4], v154
	ds_read_b128 v[5:8], v154 offset:1536
	ds_read_b128 v[21:24], v154 offset:3072
	;; [unrolled: 1-line block ×15, first 2 shown]
.LBB0_5:
	s_or_b32 exec_lo, exec_lo, s0
	s_waitcnt lgkmcnt(7)
	v_add_f64 v[37:38], v[1:2], -v[37:38]
	v_add_f64 v[39:40], v[3:4], -v[39:40]
	s_waitcnt lgkmcnt(3)
	v_add_f64 v[53:54], v[29:30], -v[53:54]
	v_add_f64 v[55:56], v[31:32], -v[55:56]
	;; [unrolled: 1-line block ×4, first 2 shown]
	s_waitcnt lgkmcnt(1)
	v_add_f64 v[61:62], v[13:14], -v[61:62]
	v_add_f64 v[63:64], v[15:16], -v[63:64]
	;; [unrolled: 1-line block ×8, first 2 shown]
	s_waitcnt lgkmcnt(0)
	v_add_f64 v[59:60], v[27:28], -v[59:60]
	v_add_f64 v[57:58], v[25:26], -v[57:58]
	s_mov_b32 s0, 0x667f3bcd
	s_mov_b32 s1, 0xbfe6a09e
	;; [unrolled: 1-line block ×6, first 2 shown]
	v_fma_f64 v[1:2], v[1:2], 2.0, -v[37:38]
	v_fma_f64 v[3:4], v[3:4], 2.0, -v[39:40]
	;; [unrolled: 1-line block ×4, first 2 shown]
	v_add_f64 v[55:56], v[37:38], -v[55:56]
	v_add_f64 v[53:54], v[39:40], v[53:54]
	v_fma_f64 v[13:14], v[13:14], 2.0, -v[61:62]
	v_add_f64 v[65:66], v[45:46], -v[63:64]
	v_add_f64 v[61:62], v[61:62], v[47:48]
	v_fma_f64 v[21:22], v[21:22], 2.0, -v[45:46]
	v_add_f64 v[69:70], v[49:50], v[35:36]
	v_add_f64 v[67:68], v[33:34], -v[51:52]
	v_fma_f64 v[23:24], v[23:24], 2.0, -v[47:48]
	v_fma_f64 v[15:16], v[15:16], 2.0, -v[63:64]
	v_add_f64 v[71:72], v[41:42], -v[59:60]
	v_add_f64 v[73:74], v[57:58], v[43:44]
	v_fma_f64 v[5:6], v[5:6], 2.0, -v[33:34]
	v_fma_f64 v[7:8], v[7:8], 2.0, -v[35:36]
	;; [unrolled: 1-line block ×8, first 2 shown]
	v_add_f64 v[29:30], v[1:2], -v[29:30]
	v_add_f64 v[31:32], v[3:4], -v[31:32]
	v_fma_f64 v[37:38], v[37:38], 2.0, -v[55:56]
	v_fma_f64 v[39:40], v[39:40], 2.0, -v[53:54]
	s_mov_b32 s7, 0xbfed906b
	v_fma_f64 v[45:46], v[45:46], 2.0, -v[65:66]
	v_fma_f64 v[47:48], v[47:48], 2.0, -v[61:62]
	v_add_f64 v[13:14], v[21:22], -v[13:14]
	v_fma_f64 v[35:36], v[35:36], 2.0, -v[69:70]
	v_fma_f64 v[33:34], v[33:34], 2.0, -v[67:68]
	v_fma_f64 v[49:50], v[65:66], s[2:3], v[55:56]
	v_add_f64 v[15:16], v[23:24], -v[15:16]
	v_fma_f64 v[41:42], v[41:42], 2.0, -v[71:72]
	v_fma_f64 v[43:44], v[43:44], 2.0, -v[73:74]
	v_fma_f64 v[51:52], v[61:62], s[2:3], v[53:54]
	v_fma_f64 v[57:58], v[71:72], s[2:3], v[67:68]
	v_add_f64 v[17:18], v[5:6], -v[17:18]
	v_add_f64 v[19:20], v[7:8], -v[19:20]
	v_fma_f64 v[59:60], v[73:74], s[2:3], v[69:70]
	s_mov_b32 s9, 0xbfd87de2
	v_add_f64 v[25:26], v[9:10], -v[25:26]
	v_add_f64 v[27:28], v[11:12], -v[27:28]
	v_fma_f64 v[1:2], v[1:2], 2.0, -v[29:30]
	v_fma_f64 v[3:4], v[3:4], 2.0, -v[31:32]
	s_mov_b32 s11, 0x3fd87de2
	s_mov_b32 s17, 0x3fed906b
	;; [unrolled: 1-line block ×3, first 2 shown]
	v_fma_f64 v[63:64], v[45:46], s[0:1], v[37:38]
	v_fma_f64 v[75:76], v[47:48], s[0:1], v[39:40]
	v_fma_f64 v[21:22], v[21:22], 2.0, -v[13:14]
	v_add_f64 v[13:14], v[31:32], v[13:14]
	s_mov_b32 s16, s6
	v_fma_f64 v[49:50], v[61:62], s[0:1], v[49:50]
	v_fma_f64 v[23:24], v[23:24], 2.0, -v[15:16]
	v_fma_f64 v[77:78], v[41:42], s[0:1], v[33:34]
	v_fma_f64 v[79:80], v[43:44], s[0:1], v[35:36]
	v_add_f64 v[15:16], v[29:30], -v[15:16]
	v_fma_f64 v[51:52], v[65:66], s[2:3], v[51:52]
	v_fma_f64 v[5:6], v[5:6], 2.0, -v[17:18]
	v_fma_f64 v[7:8], v[7:8], 2.0, -v[19:20]
	v_fma_f64 v[57:58], v[73:74], s[0:1], v[57:58]
	v_fma_f64 v[59:60], v[71:72], s[2:3], v[59:60]
	v_fma_f64 v[9:10], v[9:10], 2.0, -v[25:26]
	v_fma_f64 v[11:12], v[11:12], 2.0, -v[27:28]
	v_add_f64 v[27:28], v[17:18], -v[27:28]
	v_add_f64 v[25:26], v[25:26], v[19:20]
	v_lshlrev_b32_e32 v158, 8, v0
	s_barrier
	v_fma_f64 v[47:48], v[47:48], s[0:1], v[63:64]
	v_fma_f64 v[45:46], v[45:46], s[2:3], v[75:76]
	v_add_f64 v[21:22], v[1:2], -v[21:22]
	v_fma_f64 v[31:32], v[31:32], 2.0, -v[13:14]
	buffer_gl0_inv
	v_fma_f64 v[55:56], v[55:56], 2.0, -v[49:50]
	v_add_f64 v[23:24], v[3:4], -v[23:24]
	v_fma_f64 v[43:44], v[43:44], s[0:1], v[77:78]
	v_fma_f64 v[41:42], v[41:42], s[2:3], v[79:80]
	v_fma_f64 v[29:30], v[29:30], 2.0, -v[15:16]
	v_fma_f64 v[53:54], v[53:54], 2.0, -v[51:52]
	;; [unrolled: 1-line block ×4, first 2 shown]
	v_add_f64 v[9:10], v[5:6], -v[9:10]
	v_add_f64 v[11:12], v[7:8], -v[11:12]
	v_fma_f64 v[17:18], v[17:18], 2.0, -v[27:28]
	v_fma_f64 v[19:20], v[19:20], 2.0, -v[25:26]
	v_fma_f64 v[65:66], v[27:28], s[2:3], v[15:16]
	v_fma_f64 v[67:68], v[25:26], s[2:3], v[13:14]
	;; [unrolled: 1-line block ×3, first 2 shown]
	v_fma_f64 v[37:38], v[37:38], 2.0, -v[47:48]
	v_fma_f64 v[39:40], v[39:40], 2.0, -v[45:46]
	;; [unrolled: 1-line block ×3, first 2 shown]
	v_fma_f64 v[87:88], v[59:60], s[16:17], v[51:52]
	v_fma_f64 v[3:4], v[3:4], 2.0, -v[23:24]
	v_fma_f64 v[33:34], v[33:34], 2.0, -v[43:44]
	;; [unrolled: 1-line block ×3, first 2 shown]
	v_fma_f64 v[79:80], v[43:44], s[10:11], v[47:48]
	v_fma_f64 v[81:82], v[41:42], s[10:11], v[45:46]
	;; [unrolled: 1-line block ×4, first 2 shown]
	v_fma_f64 v[5:6], v[5:6], 2.0, -v[9:10]
	v_fma_f64 v[7:8], v[7:8], 2.0, -v[11:12]
	v_fma_f64 v[71:72], v[17:18], s[0:1], v[29:30]
	v_fma_f64 v[73:74], v[19:20], s[0:1], v[31:32]
	v_add_f64 v[109:110], v[21:22], -v[11:12]
	v_add_f64 v[111:112], v[23:24], v[9:10]
	v_fma_f64 v[113:114], v[25:26], s[0:1], v[65:66]
	v_fma_f64 v[115:116], v[27:28], s[2:3], v[67:68]
	;; [unrolled: 1-line block ×10, first 2 shown]
	v_add_f64 v[93:94], v[1:2], -v[5:6]
	v_add_f64 v[95:96], v[3:4], -v[7:8]
	v_fma_f64 v[97:98], v[19:20], s[0:1], v[71:72]
	v_fma_f64 v[99:100], v[17:18], s[2:3], v[73:74]
	v_fma_f64 v[73:74], v[21:22], 2.0, -v[109:110]
	v_fma_f64 v[75:76], v[23:24], 2.0, -v[111:112]
	;; [unrolled: 1-line block ×4, first 2 shown]
	v_fma_f64 v[101:102], v[35:36], s[8:9], v[83:84]
	v_fma_f64 v[103:104], v[33:34], s[10:11], v[85:86]
	v_fma_f64 v[83:84], v[13:14], 2.0, -v[115:116]
	v_fma_f64 v[85:86], v[49:50], 2.0, -v[121:122]
	;; [unrolled: 1-line block ×12, first 2 shown]
	s_and_saveexec_b32 s0, vcc_lo
	s_cbranch_execz .LBB0_7
; %bb.6:
	ds_write_b128 v158, v[61:64]
	ds_write_b128 v158, v[65:68] offset:16
	ds_write_b128 v158, v[69:72] offset:32
	;; [unrolled: 1-line block ×15, first 2 shown]
.LBB0_7:
	s_or_b32 exec_lo, exec_lo, s0
	s_clause 0x1
	s_load_dwordx2 s[0:1], s[4:5], 0x20
	s_load_dwordx2 s[2:3], s[4:5], 0x8
	s_waitcnt lgkmcnt(0)
	s_barrier
	buffer_gl0_inv
	s_and_saveexec_b32 s4, vcc_lo
	s_cbranch_execz .LBB0_9
; %bb.8:
	ds_read_b128 v[61:64], v154
	ds_read_b128 v[65:68], v154 offset:1536
	ds_read_b128 v[69:72], v154 offset:3072
	;; [unrolled: 1-line block ×15, first 2 shown]
.LBB0_9:
	s_or_b32 exec_lo, exec_lo, s4
	v_and_b32_e32 v157, 15, v0
	s_mov_b32 s4, 0x667f3bcd
	s_mov_b32 s5, 0xbfe6a09e
	;; [unrolled: 1-line block ×4, first 2 shown]
	v_mad_u64_u32 v[53:54], null, 0xf0, v157, s[2:3]
	s_mov_b32 s8, 0xcf328d46
	s_mov_b32 s9, 0xbfed906b
	;; [unrolled: 1-line block ×6, first 2 shown]
	s_clause 0xe
	global_load_dwordx4 v[1:4], v[53:54], off
	global_load_dwordx4 v[13:16], v[53:54], off offset:16
	global_load_dwordx4 v[9:12], v[53:54], off offset:32
	;; [unrolled: 1-line block ×14, first 2 shown]
	s_mov_b32 s19, 0x3fd87de2
	s_mov_b32 s18, s16
	s_waitcnt vmcnt(0) lgkmcnt(0)
	s_barrier
	buffer_gl0_inv
	v_mul_f64 v[125:126], v[67:68], v[3:4]
	v_mul_f64 v[127:128], v[65:66], v[3:4]
	v_mul_f64 v[129:130], v[71:72], v[15:16]
	v_mul_f64 v[131:132], v[69:70], v[15:16]
	v_mul_f64 v[133:134], v[79:80], v[11:12]
	v_mul_f64 v[135:136], v[77:78], v[11:12]
	v_mul_f64 v[137:138], v[75:76], v[7:8]
	v_mul_f64 v[139:140], v[73:74], v[7:8]
	v_mul_f64 v[141:142], v[91:92], v[19:20]
	v_mul_f64 v[143:144], v[89:90], v[19:20]
	v_mul_f64 v[145:146], v[83:84], v[35:36]
	v_mul_f64 v[147:148], v[81:82], v[35:36]
	v_mul_f64 v[149:150], v[95:96], v[23:24]
	v_mul_f64 v[151:152], v[93:94], v[23:24]
	v_mul_f64 v[159:160], v[103:104], v[27:28]
	v_mul_f64 v[161:162], v[101:102], v[27:28]
	v_mul_f64 v[163:164], v[111:112], v[31:32]
	v_mul_f64 v[165:166], v[109:110], v[31:32]
	v_mul_f64 v[167:168], v[119:120], v[39:40]
	v_mul_f64 v[169:170], v[117:118], v[39:40]
	v_mul_f64 v[171:172], v[87:88], v[43:44]
	v_mul_f64 v[173:174], v[85:86], v[43:44]
	v_mul_f64 v[175:176], v[97:98], v[47:48]
	v_mul_f64 v[177:178], v[113:114], v[59:60]
	v_mul_f64 v[179:180], v[107:108], v[51:52]
	v_mul_f64 v[181:182], v[105:106], v[51:52]
	v_mul_f64 v[183:184], v[121:122], v[55:56]
	v_mul_f64 v[185:186], v[115:116], v[59:60]
	v_mul_f64 v[187:188], v[123:124], v[55:56]
	v_mul_f64 v[189:190], v[99:100], v[47:48]
	v_fma_f64 v[65:66], v[65:66], v[1:2], -v[125:126]
	v_fma_f64 v[67:68], v[67:68], v[1:2], v[127:128]
	v_fma_f64 v[69:70], v[69:70], v[13:14], -v[129:130]
	v_fma_f64 v[71:72], v[71:72], v[13:14], v[131:132]
	;; [unrolled: 2-line block ×5, first 2 shown]
	v_fma_f64 v[83:84], v[83:84], v[33:34], v[147:148]
	v_fma_f64 v[93:94], v[93:94], v[21:22], -v[149:150]
	v_fma_f64 v[95:96], v[95:96], v[21:22], v[151:152]
	v_fma_f64 v[101:102], v[101:102], v[25:26], -v[159:160]
	v_fma_f64 v[109:110], v[109:110], v[29:30], -v[163:164]
	v_fma_f64 v[111:112], v[111:112], v[29:30], v[165:166]
	v_fma_f64 v[99:100], v[99:100], v[45:46], v[175:176]
	;; [unrolled: 1-line block ×4, first 2 shown]
	v_fma_f64 v[117:118], v[117:118], v[37:38], -v[167:168]
	v_fma_f64 v[119:120], v[119:120], v[37:38], v[169:170]
	v_fma_f64 v[87:88], v[87:88], v[41:42], v[173:174]
	v_fma_f64 v[105:106], v[105:106], v[49:50], -v[179:180]
	v_fma_f64 v[123:124], v[123:124], v[53:54], v[183:184]
	v_fma_f64 v[81:82], v[81:82], v[33:34], -v[145:146]
	v_fma_f64 v[85:86], v[85:86], v[41:42], -v[171:172]
	v_fma_f64 v[107:108], v[107:108], v[49:50], v[181:182]
	v_fma_f64 v[121:122], v[121:122], v[53:54], -v[187:188]
	v_fma_f64 v[113:114], v[113:114], v[57:58], -v[185:186]
	;; [unrolled: 1-line block ×3, first 2 shown]
	v_add_f64 v[93:94], v[61:62], -v[93:94]
	v_add_f64 v[95:96], v[63:64], -v[95:96]
	;; [unrolled: 1-line block ×16, first 2 shown]
	v_fma_f64 v[61:62], v[61:62], 2.0, -v[93:94]
	v_fma_f64 v[63:64], v[63:64], 2.0, -v[95:96]
	v_fma_f64 v[65:66], v[65:66], 2.0, -v[101:102]
	v_fma_f64 v[73:74], v[73:74], 2.0, -v[109:110]
	v_fma_f64 v[75:76], v[75:76], 2.0, -v[111:112]
	v_add_f64 v[111:112], v[93:94], -v[111:112]
	v_fma_f64 v[83:84], v[83:84], 2.0, -v[115:116]
	v_add_f64 v[109:110], v[95:96], v[109:110]
	v_fma_f64 v[89:90], v[89:90], 2.0, -v[117:118]
	v_add_f64 v[125:126], v[101:102], -v[119:120]
	v_add_f64 v[117:118], v[103:104], v[117:118]
	v_fma_f64 v[71:72], v[71:72], 2.0, -v[99:100]
	v_add_f64 v[127:128], v[105:106], -v[123:124]
	v_fma_f64 v[67:68], v[67:68], 2.0, -v[103:104]
	v_fma_f64 v[91:92], v[91:92], 2.0, -v[119:120]
	;; [unrolled: 1-line block ×3, first 2 shown]
	v_add_f64 v[129:130], v[107:108], v[121:122]
	v_add_f64 v[131:132], v[99:100], v[113:114]
	v_add_f64 v[115:116], v[97:98], -v[115:116]
	v_fma_f64 v[79:80], v[79:80], 2.0, -v[107:108]
	v_fma_f64 v[87:88], v[87:88], 2.0, -v[123:124]
	;; [unrolled: 1-line block ×5, first 2 shown]
	v_add_f64 v[73:74], v[61:62], -v[73:74]
	v_add_f64 v[75:76], v[63:64], -v[75:76]
	v_fma_f64 v[93:94], v[93:94], 2.0, -v[111:112]
	v_fma_f64 v[95:96], v[95:96], 2.0, -v[109:110]
	v_add_f64 v[89:90], v[65:66], -v[89:90]
	v_fma_f64 v[101:102], v[101:102], 2.0, -v[125:126]
	v_fma_f64 v[103:104], v[103:104], 2.0, -v[117:118]
	v_add_f64 v[83:84], v[71:72], -v[83:84]
	v_fma_f64 v[105:106], v[105:106], 2.0, -v[127:128]
	v_fma_f64 v[121:122], v[127:128], s[6:7], v[125:126]
	v_add_f64 v[91:92], v[67:68], -v[91:92]
	v_fma_f64 v[107:108], v[107:108], 2.0, -v[129:130]
	v_fma_f64 v[99:100], v[99:100], 2.0, -v[131:132]
	;; [unrolled: 1-line block ×3, first 2 shown]
	v_fma_f64 v[113:114], v[115:116], s[6:7], v[111:112]
	v_add_f64 v[87:88], v[79:80], -v[87:88]
	v_add_f64 v[85:86], v[77:78], -v[85:86]
	v_fma_f64 v[119:120], v[131:132], s[6:7], v[109:110]
	v_add_f64 v[81:82], v[69:70], -v[81:82]
	v_fma_f64 v[123:124], v[129:130], s[6:7], v[117:118]
	;; [unrolled: 2-line block ×3, first 2 shown]
	v_fma_f64 v[151:152], v[67:68], 2.0, -v[91:92]
	v_fma_f64 v[135:136], v[107:108], s[4:5], v[103:104]
	v_fma_f64 v[137:138], v[99:100], s[4:5], v[95:96]
	;; [unrolled: 1-line block ×4, first 2 shown]
	v_add_f64 v[143:144], v[89:90], -v[87:88]
	v_add_f64 v[145:146], v[91:92], v[85:86]
	v_fma_f64 v[149:150], v[115:116], s[6:7], v[119:120]
	v_add_f64 v[147:148], v[75:76], v[81:82]
	v_fma_f64 v[115:116], v[129:130], s[4:5], v[121:122]
	v_fma_f64 v[113:114], v[127:128], s[6:7], v[123:124]
	v_fma_f64 v[119:120], v[61:62], 2.0, -v[73:74]
	v_fma_f64 v[127:128], v[63:64], 2.0, -v[75:76]
	;; [unrolled: 1-line block ×8, first 2 shown]
	v_fma_f64 v[83:84], v[107:108], s[4:5], v[133:134]
	v_fma_f64 v[85:86], v[105:106], s[6:7], v[135:136]
	;; [unrolled: 1-line block ×4, first 2 shown]
	v_fma_f64 v[65:66], v[111:112], 2.0, -v[131:132]
	v_fma_f64 v[87:88], v[89:90], 2.0, -v[143:144]
	;; [unrolled: 1-line block ×7, first 2 shown]
	v_fma_f64 v[99:100], v[143:144], s[6:7], v[141:142]
	v_fma_f64 v[105:106], v[145:146], s[6:7], v[147:148]
	v_add_f64 v[107:108], v[129:130], -v[67:68]
	v_add_f64 v[109:110], v[151:152], -v[77:78]
	;; [unrolled: 1-line block ×4, first 2 shown]
	v_fma_f64 v[81:82], v[115:116], s[10:11], v[131:132]
	v_fma_f64 v[125:126], v[101:102], 2.0, -v[83:84]
	v_fma_f64 v[133:134], v[103:104], 2.0, -v[85:86]
	;; [unrolled: 1-line block ×4, first 2 shown]
	v_fma_f64 v[93:94], v[113:114], s[10:11], v[149:150]
	v_fma_f64 v[95:96], v[87:88], s[4:5], v[63:64]
	;; [unrolled: 1-line block ×8, first 2 shown]
	v_fma_f64 v[129:130], v[129:130], 2.0, -v[107:108]
	v_fma_f64 v[151:152], v[151:152], 2.0, -v[109:110]
	;; [unrolled: 1-line block ×4, first 2 shown]
	v_fma_f64 v[119:120], v[143:144], s[6:7], v[105:106]
	v_fma_f64 v[113:114], v[113:114], s[16:17], v[81:82]
	v_add_f64 v[105:106], v[67:68], -v[109:110]
	v_add_f64 v[107:108], v[123:124], v[107:108]
	v_fma_f64 v[143:144], v[133:134], s[8:9], v[75:76]
	v_fma_f64 v[127:128], v[125:126], s[8:9], v[69:70]
	;; [unrolled: 1-line block ×9, first 2 shown]
	v_fma_f64 v[81:82], v[141:142], 2.0, -v[117:118]
	v_add_f64 v[93:94], v[73:74], -v[129:130]
	v_add_f64 v[95:96], v[77:78], -v[151:152]
	v_fma_f64 v[83:84], v[147:148], 2.0, -v[119:120]
	v_fma_f64 v[85:86], v[131:132], 2.0, -v[113:114]
	v_fma_f64 v[91:92], v[125:126], s[18:19], v[143:144]
	v_fma_f64 v[89:90], v[133:134], s[16:17], v[127:128]
	v_fma_f64 v[87:88], v[149:150], 2.0, -v[115:116]
	s_and_saveexec_b32 s4, vcc_lo
	s_cbranch_execz .LBB0_11
; %bb.10:
	v_fma_f64 v[133:134], v[77:78], 2.0, -v[95:96]
	v_fma_f64 v[131:132], v[73:74], 2.0, -v[93:94]
	;; [unrolled: 1-line block ×12, first 2 shown]
	v_and_or_b32 v61, 0x700, v154, v157
	v_lshlrev_b32_e32 v61, 4, v61
	ds_write_b128 v61, v[81:84] offset:1536
	ds_write_b128 v61, v[85:88] offset:1792
	;; [unrolled: 1-line block ×3, first 2 shown]
	ds_write_b128 v61, v[131:134]
	ds_write_b128 v61, v[73:76] offset:256
	ds_write_b128 v61, v[69:72] offset:512
	;; [unrolled: 1-line block ×12, first 2 shown]
.LBB0_11:
	s_or_b32 exec_lo, exec_lo, s4
	v_mad_u64_u32 v[61:62], null, 0x50, v0, s[2:3]
	s_load_dwordx4 s[4:7], s[0:1], 0x0
	s_waitcnt lgkmcnt(0)
	s_barrier
	buffer_gl0_inv
	s_mov_b32 s3, 0xbfebb67a
	v_add_co_u32 v69, s0, 0xf00, v61
	v_add_co_u32 v65, s1, 0x800, v61
	v_add_co_ci_u32_e64 v70, s0, 0, v62, s0
	v_add_co_ci_u32_e64 v66, s0, 0, v62, s1
	s_clause 0x4
	global_load_dwordx4 v[61:64], v[69:70], off offset:32
	global_load_dwordx4 v[77:80], v[65:66], off offset:1856
	;; [unrolled: 1-line block ×5, first 2 shown]
	ds_read_b128 v[121:124], v154 offset:12288
	ds_read_b128 v[125:128], v154 offset:20480
	;; [unrolled: 1-line block ×5, first 2 shown]
	s_mov_b32 s0, 0xe8584caa
	s_mov_b32 s1, 0x3febb67a
	;; [unrolled: 1-line block ×3, first 2 shown]
	s_waitcnt vmcnt(4) lgkmcnt(4)
	v_mul_f64 v[141:142], v[123:124], v[63:64]
	v_mul_f64 v[143:144], v[121:122], v[63:64]
	s_waitcnt vmcnt(3) lgkmcnt(3)
	v_mul_f64 v[145:146], v[125:126], v[79:80]
	v_mul_f64 v[147:148], v[127:128], v[79:80]
	;; [unrolled: 3-line block ×3, first 2 shown]
	v_fma_f64 v[141:142], v[121:122], v[61:62], -v[141:142]
	v_fma_f64 v[143:144], v[123:124], v[61:62], v[143:144]
	v_fma_f64 v[127:128], v[127:128], v[77:78], v[145:146]
	v_fma_f64 v[125:126], v[125:126], v[77:78], -v[147:148]
	s_waitcnt vmcnt(1) lgkmcnt(1)
	v_mul_f64 v[121:122], v[135:136], v[75:76]
	v_mul_f64 v[123:124], v[133:134], v[75:76]
	s_waitcnt vmcnt(0) lgkmcnt(0)
	v_mul_f64 v[145:146], v[139:140], v[71:72]
	v_mul_f64 v[147:148], v[137:138], v[71:72]
	v_fma_f64 v[129:130], v[129:130], v[65:66], -v[149:150]
	v_fma_f64 v[131:132], v[131:132], v[65:66], v[151:152]
	v_add_f64 v[149:150], v[143:144], v[127:128]
	v_add_f64 v[151:152], v[141:142], v[125:126]
	v_fma_f64 v[133:134], v[133:134], v[73:74], -v[121:122]
	v_fma_f64 v[135:136], v[135:136], v[73:74], v[123:124]
	v_fma_f64 v[137:138], v[137:138], v[69:70], -v[145:146]
	v_fma_f64 v[139:140], v[139:140], v[69:70], v[147:148]
	v_add_f64 v[145:146], v[143:144], -v[127:128]
	v_add_f64 v[147:148], v[141:142], -v[125:126]
	ds_read_b128 v[121:124], v154
	v_fma_f64 v[149:150], v[149:150], -0.5, v[131:132]
	v_fma_f64 v[151:152], v[151:152], -0.5, v[129:130]
	v_add_f64 v[129:130], v[129:130], v[141:142]
	v_add_f64 v[131:132], v[131:132], v[143:144]
	;; [unrolled: 1-line block ×4, first 2 shown]
	v_fma_f64 v[163:164], v[147:148], s[2:3], v[149:150]
	v_fma_f64 v[165:166], v[145:146], s[2:3], v[151:152]
	v_fma_f64 v[145:146], v[145:146], s[0:1], v[151:152]
	v_fma_f64 v[147:148], v[147:148], s[0:1], v[149:150]
	s_waitcnt lgkmcnt(0)
	v_add_f64 v[149:150], v[121:122], v[133:134]
	v_add_f64 v[151:152], v[135:136], -v[139:140]
	v_add_f64 v[135:136], v[123:124], v[135:136]
	v_fma_f64 v[121:122], v[159:160], -0.5, v[121:122]
	v_add_f64 v[133:134], v[133:134], -v[137:138]
	v_fma_f64 v[123:124], v[161:162], -0.5, v[123:124]
	v_add_f64 v[125:126], v[129:130], v[125:126]
	v_add_f64 v[127:128], v[131:132], v[127:128]
	v_mul_f64 v[141:142], v[163:164], s[0:1]
	v_mul_f64 v[143:144], v[165:166], -0.5
	v_mul_f64 v[159:160], v[145:146], s[2:3]
	v_mul_f64 v[161:162], v[147:148], -0.5
	v_add_f64 v[137:138], v[149:150], v[137:138]
	v_add_f64 v[135:136], v[135:136], v[139:140]
	v_fma_f64 v[149:150], v[151:152], s[0:1], v[121:122]
	v_fma_f64 v[151:152], v[151:152], s[2:3], v[121:122]
	;; [unrolled: 1-line block ×4, first 2 shown]
	v_fma_f64 v[133:134], v[145:146], 0.5, v[141:142]
	v_fma_f64 v[143:144], v[147:148], s[0:1], v[143:144]
	v_fma_f64 v[145:146], v[163:164], 0.5, v[159:160]
	v_fma_f64 v[147:148], v[165:166], s[2:3], v[161:162]
	v_add_f64 v[129:130], v[137:138], v[125:126]
	v_add_f64 v[125:126], v[137:138], -v[125:126]
	v_add_f64 v[131:132], v[135:136], v[127:128]
	v_add_f64 v[127:128], v[135:136], -v[127:128]
	v_add_f64 v[121:122], v[149:150], v[133:134]
	v_add_f64 v[137:138], v[151:152], v[143:144]
	;; [unrolled: 1-line block ×4, first 2 shown]
	v_add_f64 v[141:142], v[149:150], -v[133:134]
	v_add_f64 v[133:134], v[151:152], -v[143:144]
	;; [unrolled: 1-line block ×4, first 2 shown]
	v_or_b32_e32 v145, 0x300, v0
	ds_write_b128 v154, v[129:132]
	ds_write_b128 v154, v[125:128] offset:12288
	ds_write_b128 v154, v[121:124] offset:4096
	;; [unrolled: 1-line block ×5, first 2 shown]
	v_lshlrev_b32_e32 v159, 4, v145
	s_waitcnt lgkmcnt(0)
	s_barrier
	buffer_gl0_inv
	s_and_saveexec_b32 s2, vcc_lo
	s_cbranch_execz .LBB0_13
; %bb.12:
	s_add_u32 s0, s14, 0x6000
	s_addc_u32 s1, s15, 0
	v_or_b32_e32 v164, 0x1800, v154
	s_clause 0x2
	global_load_dwordx4 v[145:148], v154, s[0:1]
	global_load_dwordx4 v[149:152], v154, s[0:1] offset:1536
	global_load_dwordx4 v[160:163], v159, s[0:1]
	v_or_b32_e32 v168, 0x4800, v154
	s_clause 0x1
	global_load_dwordx4 v[164:167], v164, s[0:1]
	global_load_dwordx4 v[168:171], v168, s[0:1]
	ds_read_b128 v[172:175], v154
	ds_read_b128 v[176:179], v154 offset:1536
	ds_read_b128 v[180:183], v154 offset:12288
	;; [unrolled: 1-line block ×4, first 2 shown]
	v_add_co_u32 v222, s0, s0, v154
	v_add_co_ci_u32_e64 v223, null, s1, 0, s0
	v_add_co_u32 v192, s0, 0x5800, v222
	v_add_co_ci_u32_e64 v193, s0, 0, v223, s0
	global_load_dwordx4 v[192:195], v[192:193], off offset:512
	s_waitcnt vmcnt(5) lgkmcnt(4)
	v_mul_f64 v[196:197], v[174:175], v[147:148]
	v_mul_f64 v[147:148], v[172:173], v[147:148]
	s_waitcnt vmcnt(3) lgkmcnt(2)
	v_mul_f64 v[200:201], v[182:183], v[162:163]
	v_mul_f64 v[162:163], v[180:181], v[162:163]
	;; [unrolled: 1-line block ×4, first 2 shown]
	v_fma_f64 v[172:173], v[172:173], v[145:146], -v[196:197]
	v_fma_f64 v[174:175], v[174:175], v[145:146], v[147:148]
	ds_read_b128 v[145:148], v154 offset:7680
	s_waitcnt vmcnt(2) lgkmcnt(2)
	v_mul_f64 v[202:203], v[186:187], v[166:167]
	v_mul_f64 v[166:167], v[184:185], v[166:167]
	v_fma_f64 v[180:181], v[180:181], v[160:161], -v[200:201]
	v_fma_f64 v[182:183], v[182:183], v[160:161], v[162:163]
	ds_read_b128 v[160:163], v154 offset:18432
	v_add_co_u32 v196, s0, 0x1800, v222
	v_add_co_ci_u32_e64 v197, s0, 0, v223, s0
	v_add_co_u32 v200, s0, 0x4000, v222
	v_add_co_ci_u32_e64 v201, s0, 0, v223, s0
	v_fma_f64 v[176:177], v[176:177], v[149:150], -v[198:199]
	v_fma_f64 v[178:179], v[178:179], v[149:150], v[151:152]
	global_load_dwordx4 v[149:152], v[196:197], off offset:1536
	ds_read_b128 v[196:199], v154 offset:19968
	v_fma_f64 v[184:185], v[184:185], v[164:165], -v[202:203]
	v_fma_f64 v[186:187], v[186:187], v[164:165], v[166:167]
	global_load_dwordx4 v[164:167], v[200:201], off offset:512
	s_waitcnt vmcnt(3) lgkmcnt(1)
	v_mul_f64 v[200:201], v[162:163], v[170:171]
	v_mul_f64 v[170:171], v[160:161], v[170:171]
	v_add_co_u32 v202, s0, 0x800, v222
	v_add_co_ci_u32_e64 v203, s0, 0, v223, s0
	v_fma_f64 v[160:161], v[160:161], v[168:169], -v[200:201]
	v_fma_f64 v[162:163], v[162:163], v[168:169], v[170:171]
	global_load_dwordx4 v[168:171], v[202:203], off offset:1024
	v_add_co_u32 v200, s0, 0x1000, v222
	v_add_co_ci_u32_e64 v201, s0, 0, v223, s0
	global_load_dwordx4 v[200:203], v[200:201], off offset:512
	ds_read_b128 v[204:207], v154 offset:3072
	ds_read_b128 v[208:211], v154 offset:4608
	s_waitcnt vmcnt(1) lgkmcnt(1)
	v_mul_f64 v[212:213], v[206:207], v[170:171]
	v_mul_f64 v[170:171], v[204:205], v[170:171]
	v_fma_f64 v[204:205], v[204:205], v[168:169], -v[212:213]
	v_fma_f64 v[206:207], v[206:207], v[168:169], v[170:171]
	s_waitcnt vmcnt(0) lgkmcnt(0)
	v_mul_f64 v[168:169], v[210:211], v[202:203]
	v_mul_f64 v[170:171], v[208:209], v[202:203]
	v_fma_f64 v[168:169], v[208:209], v[200:201], -v[168:169]
	v_fma_f64 v[170:171], v[210:211], v[200:201], v[170:171]
	v_mul_f64 v[200:201], v[147:148], v[151:152]
	v_mul_f64 v[151:152], v[145:146], v[151:152]
	v_fma_f64 v[145:146], v[145:146], v[149:150], -v[200:201]
	v_fma_f64 v[147:148], v[147:148], v[149:150], v[151:152]
	v_add_co_u32 v149, s0, 0x2000, v222
	v_add_co_ci_u32_e64 v150, s0, 0, v223, s0
	v_add_co_u32 v200, s0, 0x2800, v222
	v_add_co_ci_u32_e64 v201, s0, 0, v223, s0
	s_clause 0x1
	global_load_dwordx4 v[149:152], v[149:150], off offset:1024
	global_load_dwordx4 v[200:203], v[200:201], off offset:512
	ds_read_b128 v[208:211], v154 offset:9216
	ds_read_b128 v[212:215], v154 offset:10752
	s_waitcnt vmcnt(1) lgkmcnt(1)
	v_mul_f64 v[216:217], v[210:211], v[151:152]
	v_mul_f64 v[151:152], v[208:209], v[151:152]
	v_fma_f64 v[208:209], v[208:209], v[149:150], -v[216:217]
	v_fma_f64 v[210:211], v[210:211], v[149:150], v[151:152]
	s_waitcnt vmcnt(0) lgkmcnt(0)
	v_mul_f64 v[149:150], v[214:215], v[202:203]
	v_mul_f64 v[151:152], v[212:213], v[202:203]
	v_fma_f64 v[149:150], v[212:213], v[200:201], -v[149:150]
	v_fma_f64 v[151:152], v[214:215], v[200:201], v[151:152]
	v_add_co_u32 v200, s0, 0x3000, v222
	v_add_co_ci_u32_e64 v201, s0, 0, v223, s0
	v_add_co_u32 v212, s0, 0x3800, v222
	v_add_co_ci_u32_e64 v213, s0, 0, v223, s0
	s_clause 0x1
	global_load_dwordx4 v[200:203], v[200:201], off offset:1536
	global_load_dwordx4 v[212:215], v[212:213], off offset:1024
	s_waitcnt vmcnt(1)
	v_mul_f64 v[216:217], v[190:191], v[202:203]
	v_mul_f64 v[202:203], v[188:189], v[202:203]
	v_fma_f64 v[188:189], v[188:189], v[200:201], -v[216:217]
	v_fma_f64 v[190:191], v[190:191], v[200:201], v[202:203]
	ds_read_b128 v[200:203], v154 offset:15360
	ds_read_b128 v[216:219], v154 offset:16896
	s_waitcnt vmcnt(0) lgkmcnt(1)
	v_mul_f64 v[220:221], v[202:203], v[214:215]
	v_mul_f64 v[214:215], v[200:201], v[214:215]
	v_fma_f64 v[200:201], v[200:201], v[212:213], -v[220:221]
	v_fma_f64 v[202:203], v[202:203], v[212:213], v[214:215]
	s_waitcnt lgkmcnt(0)
	v_mul_f64 v[212:213], v[218:219], v[166:167]
	v_mul_f64 v[166:167], v[216:217], v[166:167]
	v_fma_f64 v[212:213], v[216:217], v[164:165], -v[212:213]
	v_fma_f64 v[214:215], v[218:219], v[164:165], v[166:167]
	v_add_co_u32 v164, s0, 0x4800, v222
	v_add_co_ci_u32_e64 v165, s0, 0, v223, s0
	v_add_co_u32 v216, s0, 0x5000, v222
	v_add_co_ci_u32_e64 v217, s0, 0, v223, s0
	s_clause 0x1
	global_load_dwordx4 v[164:167], v[164:165], off offset:1536
	global_load_dwordx4 v[216:219], v[216:217], off offset:1024
	s_waitcnt vmcnt(1)
	v_mul_f64 v[220:221], v[198:199], v[166:167]
	v_mul_f64 v[166:167], v[196:197], v[166:167]
	v_fma_f64 v[196:197], v[196:197], v[164:165], -v[220:221]
	v_fma_f64 v[198:199], v[198:199], v[164:165], v[166:167]
	ds_read_b128 v[164:167], v154 offset:21504
	ds_read_b128 v[220:223], v154 offset:23040
	s_waitcnt vmcnt(0) lgkmcnt(1)
	v_mul_f64 v[224:225], v[166:167], v[218:219]
	v_mul_f64 v[218:219], v[164:165], v[218:219]
	v_fma_f64 v[164:165], v[164:165], v[216:217], -v[224:225]
	v_fma_f64 v[166:167], v[166:167], v[216:217], v[218:219]
	s_waitcnt lgkmcnt(0)
	v_mul_f64 v[216:217], v[222:223], v[194:195]
	v_mul_f64 v[194:195], v[220:221], v[194:195]
	v_fma_f64 v[216:217], v[220:221], v[192:193], -v[216:217]
	v_fma_f64 v[218:219], v[222:223], v[192:193], v[194:195]
	ds_write_b128 v154, v[172:175]
	ds_write_b128 v154, v[176:179] offset:1536
	ds_write_b128 v154, v[180:183] offset:12288
	;; [unrolled: 1-line block ×15, first 2 shown]
.LBB0_13:
	s_or_b32 exec_lo, exec_lo, s2
	s_waitcnt lgkmcnt(0)
	s_barrier
	buffer_gl0_inv
	s_and_saveexec_b32 s0, vcc_lo
	s_cbranch_execz .LBB0_15
; %bb.14:
	ds_read_b128 v[129:132], v154
	ds_read_b128 v[121:124], v154 offset:1536
	ds_read_b128 v[137:140], v154 offset:3072
	;; [unrolled: 1-line block ×15, first 2 shown]
.LBB0_15:
	s_or_b32 exec_lo, exec_lo, s0
	s_waitcnt lgkmcnt(7)
	v_add_f64 v[93:94], v[129:130], -v[93:94]
	v_add_f64 v[95:96], v[131:132], -v[95:96]
	s_waitcnt lgkmcnt(3)
	v_add_f64 v[105:106], v[141:142], -v[105:106]
	v_add_f64 v[107:108], v[143:144], -v[107:108]
	;; [unrolled: 1-line block ×4, first 2 shown]
	s_waitcnt lgkmcnt(1)
	v_add_f64 v[117:118], v[81:82], -v[117:118]
	v_add_f64 v[119:120], v[83:84], -v[119:120]
	;; [unrolled: 1-line block ×8, first 2 shown]
	s_waitcnt lgkmcnt(0)
	v_add_f64 v[115:116], v[87:88], -v[115:116]
	v_add_f64 v[113:114], v[85:86], -v[113:114]
	s_mov_b32 s0, 0x667f3bcd
	s_mov_b32 s1, 0xbfe6a09e
	;; [unrolled: 1-line block ×6, first 2 shown]
	v_fma_f64 v[129:130], v[129:130], 2.0, -v[93:94]
	v_fma_f64 v[131:132], v[131:132], 2.0, -v[95:96]
	;; [unrolled: 1-line block ×4, first 2 shown]
	v_add_f64 v[107:108], v[93:94], v[107:108]
	v_add_f64 v[105:106], v[95:96], -v[105:106]
	v_fma_f64 v[81:82], v[81:82], 2.0, -v[117:118]
	v_add_f64 v[145:146], v[119:120], v[101:102]
	v_add_f64 v[117:118], v[103:104], -v[117:118]
	v_fma_f64 v[137:138], v[137:138], 2.0, -v[101:102]
	v_add_f64 v[149:150], v[91:92], -v[109:110]
	v_add_f64 v[147:148], v[111:112], v[89:90]
	v_fma_f64 v[139:140], v[139:140], 2.0, -v[103:104]
	v_fma_f64 v[83:84], v[83:84], 2.0, -v[119:120]
	v_add_f64 v[151:152], v[115:116], v[97:98]
	v_add_f64 v[160:161], v[99:100], -v[113:114]
	v_fma_f64 v[119:120], v[121:122], 2.0, -v[89:90]
	v_fma_f64 v[121:122], v[123:124], 2.0, -v[91:92]
	;; [unrolled: 1-line block ×8, first 2 shown]
	v_add_f64 v[113:114], v[129:130], -v[141:142]
	v_add_f64 v[115:116], v[131:132], -v[143:144]
	v_fma_f64 v[93:94], v[93:94], 2.0, -v[107:108]
	v_fma_f64 v[95:96], v[95:96], 2.0, -v[105:106]
	s_mov_b32 s17, 0xbfd87de2
	v_fma_f64 v[101:102], v[101:102], 2.0, -v[145:146]
	v_fma_f64 v[103:104], v[103:104], 2.0, -v[117:118]
	v_add_f64 v[81:82], v[137:138], -v[81:82]
	v_fma_f64 v[91:92], v[91:92], 2.0, -v[149:150]
	v_fma_f64 v[89:90], v[89:90], 2.0, -v[147:148]
	v_fma_f64 v[127:128], v[145:146], s[2:3], v[107:108]
	v_add_f64 v[83:84], v[139:140], -v[83:84]
	v_fma_f64 v[97:98], v[97:98], 2.0, -v[151:152]
	v_fma_f64 v[99:100], v[99:100], 2.0, -v[160:161]
	v_fma_f64 v[133:134], v[117:118], s[2:3], v[105:106]
	v_fma_f64 v[135:136], v[151:152], s[2:3], v[147:148]
	v_add_f64 v[109:110], v[119:120], -v[109:110]
	v_add_f64 v[111:112], v[121:122], -v[111:112]
	v_fma_f64 v[141:142], v[160:161], s[2:3], v[149:150]
	s_mov_b32 s19, 0x3fed906b
	v_add_f64 v[85:86], v[123:124], -v[85:86]
	v_add_f64 v[87:88], v[125:126], -v[87:88]
	v_fma_f64 v[129:130], v[129:130], 2.0, -v[113:114]
	v_fma_f64 v[131:132], v[131:132], 2.0, -v[115:116]
	s_mov_b32 s16, s10
	s_mov_b32 s18, s8
	v_fma_f64 v[143:144], v[101:102], s[0:1], v[93:94]
	v_fma_f64 v[162:163], v[103:104], s[0:1], v[95:96]
	v_fma_f64 v[137:138], v[137:138], 2.0, -v[81:82]
	v_add_f64 v[81:82], v[115:116], -v[81:82]
	s_barrier
	v_fma_f64 v[168:169], v[117:118], s[2:3], v[127:128]
	v_fma_f64 v[139:140], v[139:140], 2.0, -v[83:84]
	v_fma_f64 v[164:165], v[97:98], s[0:1], v[89:90]
	v_fma_f64 v[166:167], v[99:100], s[0:1], v[91:92]
	v_add_f64 v[83:84], v[113:114], v[83:84]
	v_fma_f64 v[145:146], v[145:146], s[0:1], v[133:134]
	v_fma_f64 v[119:120], v[119:120], 2.0, -v[109:110]
	v_fma_f64 v[121:122], v[121:122], 2.0, -v[111:112]
	v_fma_f64 v[133:134], v[160:161], s[2:3], v[135:136]
	buffer_gl0_inv
	v_fma_f64 v[117:118], v[123:124], 2.0, -v[85:86]
	v_fma_f64 v[123:124], v[125:126], 2.0, -v[87:88]
	v_add_f64 v[87:88], v[87:88], v[109:110]
	v_add_f64 v[85:86], v[111:112], -v[85:86]
	v_fma_f64 v[125:126], v[151:152], s[0:1], v[141:142]
	v_fma_f64 v[103:104], v[103:104], s[2:3], v[143:144]
	;; [unrolled: 1-line block ×3, first 2 shown]
	v_add_f64 v[101:102], v[129:130], -v[137:138]
	v_fma_f64 v[162:163], v[115:116], 2.0, -v[81:82]
	v_add_f64 v[135:136], v[131:132], -v[139:140]
	v_fma_f64 v[99:100], v[99:100], s[2:3], v[164:165]
	v_fma_f64 v[97:98], v[97:98], s[0:1], v[166:167]
	v_fma_f64 v[160:161], v[113:114], 2.0, -v[83:84]
	v_fma_f64 v[164:165], v[107:108], 2.0, -v[168:169]
	;; [unrolled: 1-line block ×4, first 2 shown]
	v_add_f64 v[105:106], v[119:120], -v[117:118]
	v_add_f64 v[107:108], v[121:122], -v[123:124]
	v_fma_f64 v[109:110], v[109:110], 2.0, -v[87:88]
	v_fma_f64 v[111:112], v[111:112], 2.0, -v[85:86]
	;; [unrolled: 1-line block ×3, first 2 shown]
	v_fma_f64 v[123:124], v[133:134], s[18:19], v[168:169]
	v_fma_f64 v[184:185], v[125:126], s[18:19], v[145:146]
	v_fma_f64 v[147:148], v[93:94], 2.0, -v[103:104]
	v_fma_f64 v[149:150], v[95:96], 2.0, -v[151:152]
	v_fma_f64 v[93:94], v[87:88], s[2:3], v[83:84]
	v_fma_f64 v[95:96], v[85:86], s[2:3], v[81:82]
	v_fma_f64 v[170:171], v[129:130], 2.0, -v[101:102]
	v_fma_f64 v[172:173], v[131:132], 2.0, -v[135:136]
	;; [unrolled: 1-line block ×4, first 2 shown]
	v_fma_f64 v[176:177], v[99:100], s[10:11], v[103:104]
	v_fma_f64 v[178:179], v[97:98], s[10:11], v[151:152]
	;; [unrolled: 1-line block ×3, first 2 shown]
	v_fma_f64 v[127:128], v[119:120], 2.0, -v[105:106]
	v_fma_f64 v[121:122], v[121:122], 2.0, -v[107:108]
	v_fma_f64 v[129:130], v[109:110], s[0:1], v[160:161]
	v_fma_f64 v[131:132], v[111:112], s[0:1], v[162:163]
	;; [unrolled: 1-line block ×3, first 2 shown]
	v_add_f64 v[117:118], v[101:102], v[107:108]
	v_add_f64 v[119:120], v[135:136], -v[105:106]
	v_fma_f64 v[141:142], v[125:126], s[10:11], v[123:124]
	v_fma_f64 v[137:138], v[85:86], s[2:3], v[93:94]
	;; [unrolled: 1-line block ×7, first 2 shown]
	v_add_f64 v[105:106], v[170:171], -v[127:128]
	v_add_f64 v[107:108], v[172:173], -v[121:122]
	v_fma_f64 v[121:122], v[111:112], s[2:3], v[129:130]
	v_fma_f64 v[123:124], v[109:110], s[0:1], v[131:132]
	v_fma_f64 v[127:128], v[113:114], s[8:9], v[174:175]
	v_fma_f64 v[129:130], v[97:98], s[18:19], v[176:177]
	v_fma_f64 v[131:132], v[99:100], s[8:9], v[178:179]
	v_fma_f64 v[109:110], v[168:169], 2.0, -v[141:142]
	v_fma_f64 v[133:134], v[83:84], 2.0, -v[137:138]
	v_fma_f64 v[113:114], v[91:92], s[10:11], v[180:181]
	v_fma_f64 v[115:116], v[89:90], s[16:17], v[182:183]
	v_fma_f64 v[89:90], v[101:102], 2.0, -v[117:118]
	v_fma_f64 v[91:92], v[135:136], 2.0, -v[119:120]
	;; [unrolled: 1-line block ×14, first 2 shown]
	s_and_saveexec_b32 s0, vcc_lo
	s_cbranch_execz .LBB0_17
; %bb.16:
	ds_write_b128 v158, v[81:84]
	ds_write_b128 v158, v[85:88] offset:16
	ds_write_b128 v158, v[93:96] offset:32
	;; [unrolled: 1-line block ×15, first 2 shown]
.LBB0_17:
	s_or_b32 exec_lo, exec_lo, s0
	s_waitcnt lgkmcnt(0)
	s_barrier
	buffer_gl0_inv
	s_and_saveexec_b32 s0, vcc_lo
	s_cbranch_execz .LBB0_19
; %bb.18:
	ds_read_b128 v[81:84], v154
	ds_read_b128 v[85:88], v154 offset:1536
	ds_read_b128 v[93:96], v154 offset:3072
	;; [unrolled: 1-line block ×15, first 2 shown]
.LBB0_19:
	s_or_b32 exec_lo, exec_lo, s0
	s_waitcnt lgkmcnt(0)
	s_barrier
	buffer_gl0_inv
	s_and_saveexec_b32 s10, vcc_lo
	s_cbranch_execz .LBB0_21
; %bb.20:
	v_mul_f64 v[145:146], v[15:16], v[93:94]
	v_mul_f64 v[149:150], v[35:36], v[135:136]
	;; [unrolled: 1-line block ×22, first 2 shown]
	v_fma_f64 v[95:96], v[13:14], v[95:96], -v[145:146]
	v_fma_f64 v[133:134], v[33:34], v[133:134], v[149:150]
	v_fma_f64 v[137:138], v[57:58], v[137:138], v[151:152]
	v_fma_f64 v[145:146], v[21:22], v[107:108], -v[160:161]
	v_fma_f64 v[33:34], v[33:34], v[135:136], -v[35:36]
	v_mul_f64 v[35:36], v[3:4], v[85:86]
	v_mul_f64 v[135:136], v[27:28], v[113:114]
	v_mul_f64 v[151:152], v[19:20], v[103:104]
	v_mul_f64 v[160:161], v[39:40], v[131:132]
	v_mul_f64 v[19:20], v[19:20], v[101:102]
	v_mul_f64 v[39:40], v[39:40], v[129:130]
	v_mul_f64 v[3:4], v[3:4], v[87:88]
	v_mul_f64 v[27:28], v[27:28], v[115:116]
	v_fma_f64 v[123:124], v[45:46], v[123:124], -v[147:148]
	v_fma_f64 v[147:148], v[5:6], v[89:90], v[162:163]
	v_fma_f64 v[149:150], v[29:30], v[117:118], v[164:165]
	v_fma_f64 v[57:58], v[57:58], v[139:140], -v[59:60]
	v_fma_f64 v[13:14], v[13:14], v[93:94], v[15:16]
	v_fma_f64 v[15:16], v[45:46], v[121:122], v[47:48]
	v_fma_f64 v[45:46], v[9:10], v[99:100], -v[166:167]
	v_fma_f64 v[47:48], v[49:50], v[127:128], -v[168:169]
	v_fma_f64 v[59:60], v[41:42], v[109:110], v[170:171]
	v_fma_f64 v[89:90], v[53:54], v[141:142], v[172:173]
	v_fma_f64 v[41:42], v[41:42], v[111:112], -v[43:44]
	;; [unrolled: 4-line block ×5, first 2 shown]
	v_fma_f64 v[7:8], v[29:30], v[119:120], -v[31:32]
	v_fma_f64 v[21:22], v[21:22], v[105:106], v[23:24]
	v_add_f64 v[23:24], v[95:96], -v[123:124]
	v_add_f64 v[25:26], v[133:134], -v[137:138]
	;; [unrolled: 1-line block ×9, first 2 shown]
	s_mov_b32 s0, 0x667f3bcd
	v_add_f64 v[11:12], v[9:10], -v[11:12]
	s_mov_b32 s1, 0x3fe6a09e
	v_add_f64 v[47:48], v[35:36], -v[87:88]
	;; [unrolled: 2-line block ×6, first 2 shown]
	v_add_f64 v[21:22], v[81:82], -v[21:22]
	s_mov_b32 s16, 0xa6aea964
	v_add_f64 v[51:52], v[23:24], -v[25:26]
	v_fma_f64 v[83:84], v[83:84], 2.0, -v[27:28]
	v_add_f64 v[53:54], v[27:28], -v[29:30]
	v_fma_f64 v[29:30], v[147:148], 2.0, -v[29:30]
	v_add_f64 v[55:56], v[31:32], v[15:16]
	v_fma_f64 v[31:32], v[33:34], 2.0, -v[31:32]
	v_add_f64 v[57:58], v[37:38], -v[39:40]
	v_fma_f64 v[25:26], v[133:134], 2.0, -v[25:26]
	v_fma_f64 v[41:42], v[41:42], 2.0, -v[43:44]
	v_add_f64 v[87:88], v[43:44], v[11:12]
	v_fma_f64 v[9:10], v[9:10], 2.0, -v[11:12]
	v_fma_f64 v[35:36], v[35:36], 2.0, -v[47:48]
	s_mov_b32 s17, 0xbfd87de2
	v_add_f64 v[85:86], v[47:48], -v[49:50]
	v_fma_f64 v[33:34], v[93:94], 2.0, -v[49:50]
	v_fma_f64 v[17:18], v[17:18], 2.0, -v[19:20]
	s_mov_b32 s19, 0x3fd87de2
	v_add_f64 v[89:90], v[19:20], v[3:4]
	v_fma_f64 v[1:2], v[1:2], 2.0, -v[3:4]
	v_fma_f64 v[5:6], v[5:6], 2.0, -v[7:8]
	v_add_f64 v[91:92], v[21:22], v[7:8]
	v_fma_f64 v[7:8], v[13:14], 2.0, -v[15:16]
	v_fma_f64 v[13:14], v[59:60], 2.0, -v[39:40]
	;; [unrolled: 1-line block ×9, first 2 shown]
	v_fma_f64 v[45:46], v[51:52], s[0:1], v[53:54]
	v_fma_f64 v[11:12], v[11:12], 2.0, -v[87:88]
	s_mov_b32 s18, s16
	s_mov_b32 s21, 0xbfed906b
	;; [unrolled: 1-line block ×3, first 2 shown]
	v_fma_f64 v[43:44], v[47:48], 2.0, -v[85:86]
	v_fma_f64 v[47:48], v[57:58], s[0:1], v[85:86]
	v_add_f64 v[17:18], v[35:36], -v[17:18]
	v_fma_f64 v[3:4], v[3:4], 2.0, -v[89:90]
	v_add_f64 v[33:34], v[1:2], -v[33:34]
	v_add_f64 v[5:6], v[83:84], -v[5:6]
	v_fma_f64 v[21:22], v[21:22], 2.0, -v[91:92]
	v_add_f64 v[25:26], v[7:8], -v[25:26]
	v_add_f64 v[13:14], v[9:10], -v[13:14]
	;; [unrolled: 1-line block ×5, first 2 shown]
	v_fma_f64 v[59:60], v[87:88], s[0:1], v[89:90]
	v_fma_f64 v[81:82], v[55:56], s[0:1], v[91:92]
	;; [unrolled: 1-line block ×7, first 2 shown]
	v_fma_f64 v[1:2], v[1:2], 2.0, -v[33:34]
	v_fma_f64 v[55:56], v[83:84], 2.0, -v[5:6]
	v_fma_f64 v[99:100], v[15:16], s[2:3], v[21:22]
	v_fma_f64 v[7:8], v[7:8], 2.0, -v[25:26]
	v_fma_f64 v[9:10], v[9:10], 2.0, -v[13:14]
	;; [unrolled: 1-line block ×4, first 2 shown]
	v_add_f64 v[83:84], v[5:6], -v[25:26]
	v_fma_f64 v[25:26], v[35:36], 2.0, -v[17:18]
	v_fma_f64 v[19:20], v[19:20], 2.0, -v[41:42]
	v_add_f64 v[13:14], v[17:18], -v[13:14]
	v_fma_f64 v[35:36], v[57:58], s[0:1], v[59:60]
	v_fma_f64 v[51:52], v[51:52], s[0:1], v[81:82]
	v_add_f64 v[41:42], v[41:42], v[33:34]
	v_add_f64 v[57:58], v[29:30], v[31:32]
	v_fma_f64 v[59:60], v[15:16], s[2:3], v[93:94]
	v_fma_f64 v[53:54], v[53:54], 2.0, -v[45:46]
	v_fma_f64 v[31:32], v[11:12], s[2:3], v[95:96]
	v_fma_f64 v[15:16], v[37:38], s[0:1], v[97:98]
	;; [unrolled: 1-line block ×3, first 2 shown]
	v_add_f64 v[9:10], v[1:2], -v[9:10]
	v_add_f64 v[37:38], v[55:56], -v[39:40]
	;; [unrolled: 1-line block ×3, first 2 shown]
	v_fma_f64 v[39:40], v[85:86], 2.0, -v[47:48]
	v_fma_f64 v[85:86], v[5:6], 2.0, -v[83:84]
	v_add_f64 v[5:6], v[25:26], -v[19:20]
	v_fma_f64 v[17:18], v[17:18], 2.0, -v[13:14]
	v_fma_f64 v[19:20], v[89:90], 2.0, -v[35:36]
	;; [unrolled: 1-line block ×6, first 2 shown]
	v_fma_f64 v[7:8], v[13:14], s[0:1], v[83:84]
	v_fma_f64 v[29:30], v[43:44], 2.0, -v[31:32]
	v_fma_f64 v[27:28], v[41:42], s[0:1], v[57:58]
	v_fma_f64 v[43:44], v[31:32], s[18:19], v[59:60]
	v_fma_f64 v[33:34], v[3:4], 2.0, -v[15:16]
	v_fma_f64 v[3:4], v[47:48], s[8:9], v[45:46]
	v_fma_f64 v[95:96], v[21:22], 2.0, -v[81:82]
	v_fma_f64 v[21:22], v[35:36], s[8:9], v[51:52]
	v_fma_f64 v[107:108], v[15:16], s[18:19], v[81:82]
	v_fma_f64 v[101:102], v[55:56], 2.0, -v[37:38]
	v_fma_f64 v[49:50], v[49:50], 2.0, -v[87:88]
	;; [unrolled: 1-line block ×3, first 2 shown]
	v_fma_f64 v[97:98], v[39:40], s[16:17], v[53:54]
	v_fma_f64 v[25:26], v[25:26], 2.0, -v[5:6]
	v_fma_f64 v[99:100], v[17:18], s[2:3], v[85:86]
	v_add_f64 v[11:12], v[37:38], -v[9:10]
	v_fma_f64 v[105:106], v[19:20], s[16:17], v[89:90]
	v_add_f64 v[9:10], v[87:88], v[5:6]
	v_fma_f64 v[103:104], v[23:24], s[2:3], v[91:92]
	v_fma_f64 v[7:8], v[41:42], s[2:3], v[7:8]
	;; [unrolled: 1-line block ×10, first 2 shown]
	v_add_f64 v[27:28], v[101:102], -v[25:26]
	v_add_f64 v[25:26], v[49:50], -v[55:56]
	v_fma_f64 v[23:24], v[23:24], s[2:3], v[99:100]
	v_fma_f64 v[43:44], v[37:38], 2.0, -v[11:12]
	v_fma_f64 v[41:42], v[87:88], 2.0, -v[9:10]
	v_fma_f64 v[21:22], v[17:18], s[0:1], v[103:104]
	v_fma_f64 v[17:18], v[39:40], s[8:9], v[105:106]
	v_fma_f64 v[39:40], v[83:84], 2.0, -v[7:8]
	v_fma_f64 v[31:32], v[33:34], s[16:17], v[109:110]
	v_fma_f64 v[37:38], v[57:58], 2.0, -v[5:6]
	v_fma_f64 v[47:48], v[59:60], 2.0, -v[15:16]
	v_and_or_b32 v97, 0x700, v154, v157
	v_fma_f64 v[35:36], v[45:46], 2.0, -v[3:4]
	v_fma_f64 v[29:30], v[29:30], s[18:19], v[111:112]
	v_fma_f64 v[33:34], v[51:52], 2.0, -v[1:2]
	v_fma_f64 v[45:46], v[81:82], 2.0, -v[13:14]
	;; [unrolled: 1-line block ×6, first 2 shown]
	v_lshlrev_b32_e32 v85, 4, v97
	v_fma_f64 v[53:54], v[91:92], 2.0, -v[21:22]
	v_fma_f64 v[49:50], v[89:90], 2.0, -v[17:18]
	;; [unrolled: 1-line block ×4, first 2 shown]
	ds_write_b128 v85, v[9:12] offset:3072
	ds_write_b128 v85, v[5:8] offset:3584
	;; [unrolled: 1-line block ×9, first 2 shown]
	ds_write_b128 v85, v[57:60]
	ds_write_b128 v85, v[53:56] offset:512
	ds_write_b128 v85, v[49:52] offset:768
	;; [unrolled: 1-line block ×6, first 2 shown]
.LBB0_21:
	s_or_b32 exec_lo, exec_lo, s10
	s_waitcnt lgkmcnt(0)
	s_barrier
	buffer_gl0_inv
	ds_read_b128 v[1:4], v154 offset:12288
	ds_read_b128 v[5:8], v154 offset:20480
	ds_read_b128 v[9:12], v154 offset:4096
	ds_read_b128 v[13:16], v154 offset:8192
	ds_read_b128 v[17:20], v154 offset:16384
	s_mov_b32 s0, 0xe8584caa
	s_mov_b32 s1, 0xbfebb67a
	;; [unrolled: 1-line block ×4, first 2 shown]
	s_waitcnt lgkmcnt(4)
	v_mul_f64 v[21:22], v[63:64], v[1:2]
	s_waitcnt lgkmcnt(3)
	v_mul_f64 v[23:24], v[79:80], v[5:6]
	;; [unrolled: 2-line block ×3, first 2 shown]
	v_mul_f64 v[27:28], v[63:64], v[3:4]
	v_mul_f64 v[29:30], v[79:80], v[7:8]
	s_waitcnt lgkmcnt(1)
	v_mul_f64 v[31:32], v[75:76], v[13:14]
	s_waitcnt lgkmcnt(0)
	v_mul_f64 v[33:34], v[71:72], v[19:20]
	v_mul_f64 v[35:36], v[71:72], v[17:18]
	v_fma_f64 v[21:22], v[61:62], v[3:4], -v[21:22]
	v_fma_f64 v[7:8], v[77:78], v[7:8], -v[23:24]
	v_mul_f64 v[3:4], v[67:68], v[11:12]
	v_mul_f64 v[23:24], v[75:76], v[15:16]
	v_fma_f64 v[27:28], v[61:62], v[1:2], v[27:28]
	v_fma_f64 v[5:6], v[77:78], v[5:6], v[29:30]
	v_fma_f64 v[11:12], v[65:66], v[11:12], -v[25:26]
	v_fma_f64 v[15:16], v[73:74], v[15:16], -v[31:32]
	v_fma_f64 v[17:18], v[69:70], v[17:18], v[33:34]
	v_fma_f64 v[19:20], v[69:70], v[19:20], -v[35:36]
	v_add_f64 v[1:2], v[21:22], v[7:8]
	v_fma_f64 v[9:10], v[65:66], v[9:10], v[3:4]
	v_fma_f64 v[13:14], v[73:74], v[13:14], v[23:24]
	v_add_f64 v[35:36], v[21:22], -v[7:8]
	v_add_f64 v[23:24], v[27:28], v[5:6]
	v_add_f64 v[25:26], v[27:28], -v[5:6]
	v_add_f64 v[33:34], v[15:16], v[19:20]
	v_add_f64 v[39:40], v[15:16], -v[19:20]
	v_fma_f64 v[29:30], v[1:2], -0.5, v[11:12]
	ds_read_b128 v[1:4], v154
	v_add_f64 v[31:32], v[13:14], v[17:18]
	v_add_f64 v[11:12], v[11:12], v[21:22]
	v_fma_f64 v[23:24], v[23:24], -0.5, v[9:10]
	v_add_f64 v[9:10], v[9:10], v[27:28]
	s_waitcnt lgkmcnt(0)
	v_add_f64 v[15:16], v[3:4], v[15:16]
	v_fma_f64 v[37:38], v[25:26], s[2:3], v[29:30]
	v_fma_f64 v[25:26], v[25:26], s[0:1], v[29:30]
	v_add_f64 v[29:30], v[1:2], v[13:14]
	v_add_f64 v[13:14], v[13:14], -v[17:18]
	v_fma_f64 v[1:2], v[31:32], -0.5, v[1:2]
	v_fma_f64 v[3:4], v[33:34], -0.5, v[3:4]
	v_fma_f64 v[21:22], v[35:36], s[0:1], v[23:24]
	v_fma_f64 v[23:24], v[35:36], s[2:3], v[23:24]
	v_add_f64 v[5:6], v[9:10], v[5:6]
	v_add_f64 v[7:8], v[11:12], v[7:8]
	;; [unrolled: 1-line block ×3, first 2 shown]
	v_mul_f64 v[27:28], v[37:38], s[0:1]
	v_mul_f64 v[33:34], v[37:38], 0.5
	v_mul_f64 v[31:32], v[25:26], s[0:1]
	v_mul_f64 v[25:26], v[25:26], -0.5
	v_add_f64 v[17:18], v[29:30], v[17:18]
	v_fma_f64 v[19:20], v[39:40], s[0:1], v[1:2]
	v_fma_f64 v[35:36], v[13:14], s[2:3], v[3:4]
	;; [unrolled: 1-line block ×4, first 2 shown]
	v_add_f64 v[3:4], v[15:16], v[7:8]
	v_fma_f64 v[27:28], v[21:22], 0.5, v[27:28]
	v_fma_f64 v[33:34], v[21:22], s[2:3], v[33:34]
	v_fma_f64 v[31:32], v[23:24], -0.5, v[31:32]
	v_fma_f64 v[23:24], v[23:24], s[2:3], v[25:26]
	v_add_f64 v[1:2], v[17:18], v[5:6]
	v_add_f64 v[5:6], v[17:18], -v[5:6]
	v_add_f64 v[7:8], v[15:16], -v[7:8]
	v_add_f64 v[9:10], v[19:20], v[27:28]
	v_add_f64 v[11:12], v[35:36], v[33:34]
	;; [unrolled: 1-line block ×4, first 2 shown]
	v_add_f64 v[17:18], v[19:20], -v[27:28]
	v_add_f64 v[19:20], v[35:36], -v[33:34]
	;; [unrolled: 1-line block ×4, first 2 shown]
	ds_write_b128 v154, v[1:4]
	ds_write_b128 v154, v[5:8] offset:12288
	ds_write_b128 v154, v[9:12] offset:4096
	;; [unrolled: 1-line block ×5, first 2 shown]
	s_waitcnt lgkmcnt(0)
	s_barrier
	buffer_gl0_inv
	s_and_b32 exec_lo, exec_lo, vcc_lo
	s_cbranch_execz .LBB0_23
; %bb.22:
	v_add_co_u32 v9, s0, s14, v154
	v_add_co_ci_u32_e64 v10, null, s15, 0, s0
	v_lshlrev_b32_e32 v19, 4, v156
	v_add_co_u32 v11, vcc_lo, 0x800, v9
	v_add_co_ci_u32_e32 v12, vcc_lo, 0, v10, vcc_lo
	v_add_co_u32 v15, vcc_lo, 0x1000, v9
	v_add_co_ci_u32_e32 v16, vcc_lo, 0, v10, vcc_lo
	;; [unrolled: 2-line block ×5, first 2 shown]
	v_add_co_u32 v39, vcc_lo, 0x3000, v9
	s_clause 0x1
	global_load_dwordx4 v[1:4], v154, s[14:15]
	global_load_dwordx4 v[5:8], v154, s[14:15] offset:1536
	v_add_co_ci_u32_e32 v40, vcc_lo, 0, v10, vcc_lo
	s_clause 0x4
	global_load_dwordx4 v[11:14], v[11:12], off offset:1024
	global_load_dwordx4 v[15:18], v[15:16], off offset:512
	global_load_dwordx4 v[19:22], v19, s[14:15]
	global_load_dwordx4 v[23:26], v[23:24], off offset:1536
	global_load_dwordx4 v[27:30], v159, s[14:15]
	v_add_co_u32 v43, vcc_lo, 0x3800, v9
	v_add_co_ci_u32_e32 v44, vcc_lo, 0, v10, vcc_lo
	v_add_co_u32 v47, vcc_lo, 0x4000, v9
	v_add_co_ci_u32_e32 v48, vcc_lo, 0, v10, vcc_lo
	v_add_co_u32 v55, vcc_lo, 0x4800, v9
	s_clause 0x3
	global_load_dwordx4 v[31:34], v[31:32], off offset:1024
	global_load_dwordx4 v[35:38], v[35:36], off offset:512
	;; [unrolled: 1-line block ×4, first 2 shown]
	v_lshlrev_b32_e32 v51, 4, v155
	v_add_co_ci_u32_e32 v56, vcc_lo, 0, v10, vcc_lo
	s_clause 0x2
	global_load_dwordx4 v[47:50], v[47:48], off offset:512
	global_load_dwordx4 v[51:54], v51, s[14:15]
	global_load_dwordx4 v[55:58], v[55:56], off offset:1536
	v_mad_u64_u32 v[67:68], null, s6, v153, 0
	v_mad_u64_u32 v[69:70], null, s4, v0, 0
	;; [unrolled: 1-line block ×4, first 2 shown]
	v_mov_b32_e32 v59, v68
	s_mul_i32 s2, s4, 0x600
	v_mov_b32_e32 v60, v70
	s_mul_i32 s3, s5, 0x600
	s_mul_hi_u32 s6, s4, 0x600
	s_mov_b32 s0, 0x55555555
	s_add_i32 s3, s6, s3
	v_mad_u64_u32 v[61:62], null, s7, v153, v[59:60]
	s_mul_i32 s6, s5, 0xc00
	s_mov_b32 s1, 0x3f455555
	v_mov_b32_e32 v68, v61
	v_mad_u64_u32 v[70:71], null, s5, v0, v[60:61]
	ds_read_b128 v[59:62], v154
	ds_read_b128 v[63:66], v154 offset:1536
	v_mov_b32_e32 v0, v120
	v_lshlrev_b64 v[67:68], 4, v[67:68]
	v_mov_b32_e32 v120, v128
	v_lshlrev_b64 v[75:76], 4, v[69:70]
	v_add_co_u32 v153, vcc_lo, s12, v67
	v_add_co_ci_u32_e32 v177, vcc_lo, s13, v68, vcc_lo
	ds_read_b128 v[67:70], v154 offset:3072
	ds_read_b128 v[71:74], v154 offset:4608
	v_add_co_u32 v115, vcc_lo, v153, v75
	v_add_co_ci_u32_e32 v116, vcc_lo, v177, v76, vcc_lo
	ds_read_b128 v[75:78], v154 offset:6144
	ds_read_b128 v[79:82], v154 offset:7680
	;; [unrolled: 1-line block ×8, first 2 shown]
	v_add_co_u32 v117, vcc_lo, v115, s2
	ds_read_b128 v[107:110], v154 offset:18432
	ds_read_b128 v[111:114], v154 offset:19968
	v_add_co_ci_u32_e32 v118, vcc_lo, s3, v116, vcc_lo
	v_add_co_u32 v121, vcc_lo, v117, s2
	v_add_co_ci_u32_e32 v122, vcc_lo, s3, v118, vcc_lo
	v_mad_u64_u32 v[136:137], null, s5, v155, v[120:121]
	v_add_co_u32 v123, vcc_lo, v121, s2
	v_add_co_ci_u32_e32 v124, vcc_lo, s3, v122, vcc_lo
	v_mov_b32_e32 v128, v136
	v_mad_u64_u32 v[125:126], null, 0xc00, s4, v[123:124]
	v_lshlrev_b64 v[127:128], 4, v[127:128]
	v_add_nc_u32_e32 v126, s6, v126
	v_add_co_u32 v129, vcc_lo, v125, s2
	v_add_co_ci_u32_e32 v130, vcc_lo, s3, v126, vcc_lo
	v_add_co_u32 v131, vcc_lo, v129, s2
	v_add_co_ci_u32_e32 v132, vcc_lo, s3, v130, vcc_lo
	s_waitcnt vmcnt(13) lgkmcnt(13)
	v_mul_f64 v[147:148], v[61:62], v[3:4]
	v_mul_f64 v[3:4], v[59:60], v[3:4]
	s_waitcnt vmcnt(12) lgkmcnt(12)
	v_mul_f64 v[149:150], v[65:66], v[7:8]
	v_mul_f64 v[7:8], v[63:64], v[7:8]
	v_mad_u64_u32 v[133:134], null, s5, v156, v[0:1]
	s_waitcnt vmcnt(7) lgkmcnt(5)
	v_mul_f64 v[151:152], v[93:94], v[29:30]
	v_mul_f64 v[29:30], v[91:92], v[29:30]
	;; [unrolled: 1-line block ×10, first 2 shown]
	s_waitcnt vmcnt(6)
	v_mul_f64 v[163:164], v[85:86], v[33:34]
	v_mul_f64 v[33:34], v[83:84], v[33:34]
	s_waitcnt vmcnt(5)
	v_mul_f64 v[165:166], v[89:90], v[37:38]
	v_mul_f64 v[37:38], v[87:88], v[37:38]
	s_waitcnt vmcnt(4) lgkmcnt(4)
	v_mul_f64 v[167:168], v[97:98], v[41:42]
	v_mul_f64 v[41:42], v[95:96], v[41:42]
	s_waitcnt vmcnt(3) lgkmcnt(3)
	;; [unrolled: 3-line block ×5, first 2 shown]
	v_mul_f64 v[175:176], v[113:114], v[57:58]
	v_mul_f64 v[57:58], v[111:112], v[57:58]
	v_fma_f64 v[59:60], v[59:60], v[1:2], v[147:148]
	v_fma_f64 v[2:3], v[1:2], v[61:62], -v[3:4]
	v_fma_f64 v[61:62], v[63:64], v[5:6], v[149:150]
	v_fma_f64 v[6:7], v[5:6], v[65:66], -v[7:8]
	;; [unrolled: 2-line block ×14, first 2 shown]
	v_add_co_u32 v134, vcc_lo, v131, s2
	v_add_co_ci_u32_e32 v135, vcc_lo, s3, v132, vcc_lo
	v_mul_f64 v[0:1], v[59:60], s[0:1]
	v_add_co_u32 v137, vcc_lo, v134, s2
	v_add_co_ci_u32_e32 v138, vcc_lo, s3, v135, vcc_lo
	v_mul_f64 v[2:3], v[2:3], s[0:1]
	v_mul_f64 v[4:5], v[61:62], s[0:1]
	;; [unrolled: 1-line block ×3, first 2 shown]
	v_add_co_u32 v139, vcc_lo, v137, s2
	v_mul_f64 v[17:18], v[19:20], s[0:1]
	v_mul_f64 v[19:20], v[21:22], s[0:1]
	v_mul_f64 v[21:22], v[65:66], s[0:1]
	v_mul_f64 v[23:24], v[67:68], s[0:1]
	v_mul_f64 v[25:26], v[69:70], s[0:1]
	v_add_co_ci_u32_e32 v140, vcc_lo, s3, v138, vcc_lo
	v_mul_f64 v[15:16], v[29:30], s[0:1]
	v_mul_f64 v[13:14], v[27:28], s[0:1]
	;; [unrolled: 1-line block ×4, first 2 shown]
	v_mov_b32_e32 v120, v133
	v_mul_f64 v[31:32], v[75:76], s[0:1]
	v_mul_f64 v[33:34], v[33:34], s[0:1]
	v_add_co_u32 v141, vcc_lo, v139, s2
	v_mul_f64 v[35:36], v[77:78], s[0:1]
	v_mul_f64 v[37:38], v[37:38], s[0:1]
	;; [unrolled: 1-line block ×3, first 2 shown]
	v_add_co_ci_u32_e32 v142, vcc_lo, s3, v140, vcc_lo
	v_mul_f64 v[39:40], v[79:80], s[0:1]
	v_mul_f64 v[41:42], v[41:42], s[0:1]
	;; [unrolled: 1-line block ×4, first 2 shown]
	v_lshlrev_b64 v[119:120], 4, v[119:120]
	v_mul_f64 v[47:48], v[83:84], s[0:1]
	v_mul_f64 v[49:50], v[49:50], s[0:1]
	;; [unrolled: 1-line block ×6, first 2 shown]
	v_add_co_u32 v143, vcc_lo, 0x5000, v9
	v_mad_u64_u32 v[145:146], null, 0xc00, s4, v[141:142]
	v_add_co_ci_u32_e32 v144, vcc_lo, 0, v10, vcc_lo
	v_add_co_u32 v59, vcc_lo, v153, v119
	v_add_co_ci_u32_e32 v60, vcc_lo, v177, v120, vcc_lo
	v_add_co_u32 v61, vcc_lo, v153, v127
	v_add_co_ci_u32_e32 v62, vcc_lo, v177, v128, vcc_lo
	v_add_nc_u32_e32 v146, s6, v146
	global_store_dwordx4 v[115:116], v[0:3], off
	global_store_dwordx4 v[117:118], v[4:7], off
	;; [unrolled: 1-line block ×14, first 2 shown]
	global_load_dwordx4 v[0:3], v[143:144], off offset:1024
	ds_read_b128 v[4:7], v154 offset:21504
	ds_read_b128 v[11:14], v154 offset:23040
	s_waitcnt vmcnt(0) lgkmcnt(1)
	v_mul_f64 v[15:16], v[6:7], v[2:3]
	v_mul_f64 v[2:3], v[4:5], v[2:3]
	v_fma_f64 v[4:5], v[4:5], v[0:1], v[15:16]
	v_fma_f64 v[2:3], v[0:1], v[6:7], -v[2:3]
	v_mul_f64 v[0:1], v[4:5], s[0:1]
	v_mul_f64 v[2:3], v[2:3], s[0:1]
	v_add_co_u32 v4, vcc_lo, v145, s2
	v_add_co_ci_u32_e32 v5, vcc_lo, s3, v146, vcc_lo
	v_add_co_u32 v6, vcc_lo, 0x5800, v9
	v_add_co_ci_u32_e32 v7, vcc_lo, 0, v10, vcc_lo
	global_store_dwordx4 v[4:5], v[0:3], off
	global_load_dwordx4 v[0:3], v[6:7], off offset:512
	v_add_co_u32 v4, vcc_lo, v4, s2
	v_add_co_ci_u32_e32 v5, vcc_lo, s3, v5, vcc_lo
	s_waitcnt vmcnt(0) lgkmcnt(0)
	v_mul_f64 v[6:7], v[13:14], v[2:3]
	v_mul_f64 v[2:3], v[11:12], v[2:3]
	v_fma_f64 v[6:7], v[11:12], v[0:1], v[6:7]
	v_fma_f64 v[2:3], v[0:1], v[13:14], -v[2:3]
	v_mul_f64 v[0:1], v[6:7], s[0:1]
	v_mul_f64 v[2:3], v[2:3], s[0:1]
	global_store_dwordx4 v[4:5], v[0:3], off
.LBB0_23:
	s_endpgm
	.section	.rodata,"a",@progbits
	.p2align	6, 0x0
	.amdhsa_kernel bluestein_single_back_len1536_dim1_dp_op_CI_CI
		.amdhsa_group_segment_fixed_size 24576
		.amdhsa_private_segment_fixed_size 0
		.amdhsa_kernarg_size 104
		.amdhsa_user_sgpr_count 6
		.amdhsa_user_sgpr_private_segment_buffer 1
		.amdhsa_user_sgpr_dispatch_ptr 0
		.amdhsa_user_sgpr_queue_ptr 0
		.amdhsa_user_sgpr_kernarg_segment_ptr 1
		.amdhsa_user_sgpr_dispatch_id 0
		.amdhsa_user_sgpr_flat_scratch_init 0
		.amdhsa_user_sgpr_private_segment_size 0
		.amdhsa_wavefront_size32 1
		.amdhsa_uses_dynamic_stack 0
		.amdhsa_system_sgpr_private_segment_wavefront_offset 0
		.amdhsa_system_sgpr_workgroup_id_x 1
		.amdhsa_system_sgpr_workgroup_id_y 0
		.amdhsa_system_sgpr_workgroup_id_z 0
		.amdhsa_system_sgpr_workgroup_info 0
		.amdhsa_system_vgpr_workitem_id 0
		.amdhsa_next_free_vgpr 226
		.amdhsa_next_free_sgpr 22
		.amdhsa_reserve_vcc 1
		.amdhsa_reserve_flat_scratch 0
		.amdhsa_float_round_mode_32 0
		.amdhsa_float_round_mode_16_64 0
		.amdhsa_float_denorm_mode_32 3
		.amdhsa_float_denorm_mode_16_64 3
		.amdhsa_dx10_clamp 1
		.amdhsa_ieee_mode 1
		.amdhsa_fp16_overflow 0
		.amdhsa_workgroup_processor_mode 1
		.amdhsa_memory_ordered 1
		.amdhsa_forward_progress 0
		.amdhsa_shared_vgpr_count 0
		.amdhsa_exception_fp_ieee_invalid_op 0
		.amdhsa_exception_fp_denorm_src 0
		.amdhsa_exception_fp_ieee_div_zero 0
		.amdhsa_exception_fp_ieee_overflow 0
		.amdhsa_exception_fp_ieee_underflow 0
		.amdhsa_exception_fp_ieee_inexact 0
		.amdhsa_exception_int_div_zero 0
	.end_amdhsa_kernel
	.text
.Lfunc_end0:
	.size	bluestein_single_back_len1536_dim1_dp_op_CI_CI, .Lfunc_end0-bluestein_single_back_len1536_dim1_dp_op_CI_CI
                                        ; -- End function
	.section	.AMDGPU.csdata,"",@progbits
; Kernel info:
; codeLenInByte = 13888
; NumSgprs: 24
; NumVgprs: 226
; ScratchSize: 0
; MemoryBound: 0
; FloatMode: 240
; IeeeMode: 1
; LDSByteSize: 24576 bytes/workgroup (compile time only)
; SGPRBlocks: 2
; VGPRBlocks: 28
; NumSGPRsForWavesPerEU: 24
; NumVGPRsForWavesPerEU: 226
; Occupancy: 4
; WaveLimiterHint : 1
; COMPUTE_PGM_RSRC2:SCRATCH_EN: 0
; COMPUTE_PGM_RSRC2:USER_SGPR: 6
; COMPUTE_PGM_RSRC2:TRAP_HANDLER: 0
; COMPUTE_PGM_RSRC2:TGID_X_EN: 1
; COMPUTE_PGM_RSRC2:TGID_Y_EN: 0
; COMPUTE_PGM_RSRC2:TGID_Z_EN: 0
; COMPUTE_PGM_RSRC2:TIDIG_COMP_CNT: 0
	.text
	.p2alignl 6, 3214868480
	.fill 48, 4, 3214868480
	.type	__hip_cuid_5d1f300e7fae7696,@object ; @__hip_cuid_5d1f300e7fae7696
	.section	.bss,"aw",@nobits
	.globl	__hip_cuid_5d1f300e7fae7696
__hip_cuid_5d1f300e7fae7696:
	.byte	0                               ; 0x0
	.size	__hip_cuid_5d1f300e7fae7696, 1

	.ident	"AMD clang version 19.0.0git (https://github.com/RadeonOpenCompute/llvm-project roc-6.4.0 25133 c7fe45cf4b819c5991fe208aaa96edf142730f1d)"
	.section	".note.GNU-stack","",@progbits
	.addrsig
	.addrsig_sym __hip_cuid_5d1f300e7fae7696
	.amdgpu_metadata
---
amdhsa.kernels:
  - .args:
      - .actual_access:  read_only
        .address_space:  global
        .offset:         0
        .size:           8
        .value_kind:     global_buffer
      - .actual_access:  read_only
        .address_space:  global
        .offset:         8
        .size:           8
        .value_kind:     global_buffer
      - .actual_access:  read_only
        .address_space:  global
        .offset:         16
        .size:           8
        .value_kind:     global_buffer
      - .actual_access:  read_only
        .address_space:  global
        .offset:         24
        .size:           8
        .value_kind:     global_buffer
      - .actual_access:  read_only
        .address_space:  global
        .offset:         32
        .size:           8
        .value_kind:     global_buffer
      - .offset:         40
        .size:           8
        .value_kind:     by_value
      - .address_space:  global
        .offset:         48
        .size:           8
        .value_kind:     global_buffer
      - .address_space:  global
        .offset:         56
        .size:           8
        .value_kind:     global_buffer
      - .address_space:  global
        .offset:         64
        .size:           8
        .value_kind:     global_buffer
      - .address_space:  global
        .offset:         72
        .size:           8
        .value_kind:     global_buffer
      - .offset:         80
        .size:           4
        .value_kind:     by_value
      - .address_space:  global
        .offset:         88
        .size:           8
        .value_kind:     global_buffer
      - .address_space:  global
        .offset:         96
        .size:           8
        .value_kind:     global_buffer
    .group_segment_fixed_size: 24576
    .kernarg_segment_align: 8
    .kernarg_segment_size: 104
    .language:       OpenCL C
    .language_version:
      - 2
      - 0
    .max_flat_workgroup_size: 256
    .name:           bluestein_single_back_len1536_dim1_dp_op_CI_CI
    .private_segment_fixed_size: 0
    .sgpr_count:     24
    .sgpr_spill_count: 0
    .symbol:         bluestein_single_back_len1536_dim1_dp_op_CI_CI.kd
    .uniform_work_group_size: 1
    .uses_dynamic_stack: false
    .vgpr_count:     226
    .vgpr_spill_count: 0
    .wavefront_size: 32
    .workgroup_processor_mode: 1
amdhsa.target:   amdgcn-amd-amdhsa--gfx1030
amdhsa.version:
  - 1
  - 2
...

	.end_amdgpu_metadata
